;; amdgpu-corpus repo=ROCm/rocFFT kind=compiled arch=gfx906 opt=O3
	.text
	.amdgcn_target "amdgcn-amd-amdhsa--gfx906"
	.amdhsa_code_object_version 6
	.protected	bluestein_single_fwd_len126_dim1_dp_op_CI_CI ; -- Begin function bluestein_single_fwd_len126_dim1_dp_op_CI_CI
	.globl	bluestein_single_fwd_len126_dim1_dp_op_CI_CI
	.p2align	8
	.type	bluestein_single_fwd_len126_dim1_dp_op_CI_CI,@function
bluestein_single_fwd_len126_dim1_dp_op_CI_CI: ; @bluestein_single_fwd_len126_dim1_dp_op_CI_CI
; %bb.0:
	v_mul_u32_u24_e32 v1, 0x619, v0
	s_load_dwordx4 s[0:3], s[4:5], 0x28
	v_lshrrev_b32_e32 v1, 16, v1
	v_mad_u64_u32 v[60:61], s[6:7], s6, 6, v[1:2]
	v_mov_b32_e32 v61, 0
	s_waitcnt lgkmcnt(0)
	v_cmp_gt_u64_e32 vcc, s[0:1], v[60:61]
	s_and_saveexec_b64 s[0:1], vcc
	s_cbranch_execz .LBB0_23
; %bb.1:
	s_mov_b32 s0, 0xaaaaaaab
	v_mul_hi_u32 v2, v60, s0
	s_load_dwordx2 s[14:15], s[4:5], 0x0
	s_load_dwordx2 s[12:13], s[4:5], 0x38
	v_mul_lo_u16_e32 v1, 42, v1
	v_sub_u16_e32 v61, v0, v1
	v_lshrrev_b32_e32 v2, 2, v2
	v_mul_lo_u32 v2, v2, 6
	v_cmp_gt_u16_e32 vcc, 21, v61
	v_lshlrev_b32_e32 v63, 4, v61
	v_sub_u32_e32 v0, v60, v2
	v_mul_u32_u24_e32 v62, 0x7e, v0
	v_lshlrev_b32_e32 v64, 4, v62
	s_and_saveexec_b64 s[6:7], vcc
	s_cbranch_execz .LBB0_3
; %bb.2:
	s_load_dwordx2 s[0:1], s[4:5], 0x18
	s_waitcnt lgkmcnt(0)
	s_load_dwordx4 s[8:11], s[0:1], 0x0
	s_waitcnt lgkmcnt(0)
	v_mad_u64_u32 v[0:1], s[0:1], s10, v60, 0
	v_mad_u64_u32 v[2:3], s[0:1], s8, v61, 0
	;; [unrolled: 1-line block ×4, first 2 shown]
	v_mov_b32_e32 v1, v4
	v_lshlrev_b64 v[0:1], 4, v[0:1]
	v_mov_b32_e32 v3, v5
	v_mov_b32_e32 v6, s3
	v_lshlrev_b64 v[2:3], 4, v[2:3]
	v_add_co_u32_e64 v0, s[0:1], s2, v0
	v_addc_co_u32_e64 v1, s[0:1], v6, v1, s[0:1]
	v_add_co_u32_e64 v24, s[0:1], v0, v2
	v_addc_co_u32_e64 v25, s[0:1], v1, v3, s[0:1]
	s_mul_i32 s0, s9, 0x150
	s_mul_hi_u32 s1, s8, 0x150
	s_mul_i32 s2, s8, 0x150
	s_add_i32 s3, s1, s0
	v_mov_b32_e32 v16, s3
	v_add_co_u32_e64 v26, s[0:1], s2, v24
	v_addc_co_u32_e64 v27, s[0:1], v25, v16, s[0:1]
	v_mov_b32_e32 v28, s3
	v_add_co_u32_e64 v32, s[0:1], s2, v26
	v_addc_co_u32_e64 v33, s[0:1], v27, v28, s[0:1]
	;; [unrolled: 3-line block ×3, first 2 shown]
	global_load_dwordx4 v[0:3], v63, s[14:15]
	global_load_dwordx4 v[4:7], v63, s[14:15] offset:336
	global_load_dwordx4 v[8:11], v63, s[14:15] offset:672
	;; [unrolled: 1-line block ×3, first 2 shown]
	global_load_dwordx4 v[16:19], v[24:25], off
	global_load_dwordx4 v[20:23], v[26:27], off
	s_nop 0
	global_load_dwordx4 v[24:27], v[32:33], off
	global_load_dwordx4 v[28:31], v[34:35], off
	v_mov_b32_e32 v32, s3
	v_add_co_u32_e64 v44, s[0:1], s2, v34
	v_addc_co_u32_e64 v45, s[0:1], v35, v32, s[0:1]
	global_load_dwordx4 v[32:35], v[44:45], off
	global_load_dwordx4 v[36:39], v63, s[14:15] offset:1344
	global_load_dwordx4 v[40:43], v63, s[14:15] offset:1680
	v_mov_b32_e32 v46, s3
	v_add_co_u32_e64 v44, s[0:1], s2, v44
	v_addc_co_u32_e64 v45, s[0:1], v45, v46, s[0:1]
	global_load_dwordx4 v[44:47], v[44:45], off
	s_waitcnt vmcnt(7)
	v_mul_f64 v[48:49], v[18:19], v[2:3]
	v_mul_f64 v[2:3], v[16:17], v[2:3]
	s_waitcnt vmcnt(6)
	v_mul_f64 v[50:51], v[22:23], v[6:7]
	v_mul_f64 v[6:7], v[20:21], v[6:7]
	;; [unrolled: 3-line block ×5, first 2 shown]
	v_fma_f64 v[14:15], v[16:17], v[0:1], v[48:49]
	v_fma_f64 v[16:17], v[18:19], v[0:1], -v[2:3]
	v_fma_f64 v[0:1], v[20:21], v[4:5], v[50:51]
	v_fma_f64 v[2:3], v[22:23], v[4:5], -v[6:7]
	s_waitcnt vmcnt(0)
	v_mul_f64 v[65:66], v[46:47], v[42:43]
	v_mul_f64 v[42:43], v[44:45], v[42:43]
	v_fma_f64 v[4:5], v[24:25], v[8:9], v[52:53]
	v_fma_f64 v[6:7], v[26:27], v[8:9], -v[10:11]
	v_fma_f64 v[8:9], v[28:29], v[12:13], v[54:55]
	v_fma_f64 v[10:11], v[30:31], v[12:13], -v[56:57]
	;; [unrolled: 2-line block ×4, first 2 shown]
	v_lshl_add_u32 v12, v61, 4, v64
	ds_write_b128 v12, v[14:17]
	v_add_u32_e32 v12, v64, v63
	ds_write_b128 v12, v[0:3] offset:336
	ds_write_b128 v12, v[4:7] offset:672
	;; [unrolled: 1-line block ×5, first 2 shown]
.LBB0_3:
	s_or_b64 exec, exec, s[6:7]
	s_waitcnt lgkmcnt(0)
	s_barrier
	s_waitcnt lgkmcnt(0)
                                        ; implicit-def: $vgpr4_vgpr5
                                        ; implicit-def: $vgpr0_vgpr1
                                        ; implicit-def: $vgpr8_vgpr9
                                        ; implicit-def: $vgpr12_vgpr13
                                        ; implicit-def: $vgpr20_vgpr21
                                        ; implicit-def: $vgpr16_vgpr17
	s_and_saveexec_b64 s[0:1], vcc
	s_cbranch_execz .LBB0_5
; %bb.4:
	v_lshl_add_u32 v16, v62, 4, v63
	ds_read_b128 v[4:7], v16
	ds_read_b128 v[0:3], v16 offset:336
	ds_read_b128 v[8:11], v16 offset:672
	;; [unrolled: 1-line block ×5, first 2 shown]
.LBB0_5:
	s_or_b64 exec, exec, s[0:1]
	s_waitcnt lgkmcnt(1)
	v_add_f64 v[24:25], v[8:9], v[20:21]
	s_waitcnt lgkmcnt(0)
	v_add_f64 v[30:31], v[14:15], v[18:19]
	v_add_f64 v[32:33], v[12:13], v[16:17]
	;; [unrolled: 1-line block ×3, first 2 shown]
	v_add_f64 v[28:29], v[10:11], -v[22:23]
	v_add_f64 v[34:35], v[14:15], -v[18:19]
	v_add_f64 v[36:37], v[12:13], -v[16:17]
	s_mov_b32 s0, 0xe8584caa
	v_fma_f64 v[4:5], v[24:25], -0.5, v[4:5]
	v_add_f64 v[24:25], v[10:11], v[22:23]
	v_fma_f64 v[30:31], v[30:31], -0.5, v[2:3]
	v_fma_f64 v[32:33], v[32:33], -0.5, v[0:1]
	s_mov_b32 s1, 0x3febb67a
	s_mov_b32 s3, 0xbfebb67a
	;; [unrolled: 1-line block ×3, first 2 shown]
	v_add_f64 v[10:11], v[6:7], v[10:11]
	v_fma_f64 v[38:39], v[28:29], s[0:1], v[4:5]
	v_fma_f64 v[4:5], v[28:29], s[2:3], v[4:5]
	v_fma_f64 v[6:7], v[24:25], -0.5, v[6:7]
	v_fma_f64 v[24:25], v[36:37], s[2:3], v[30:31]
	v_fma_f64 v[28:29], v[34:35], s[2:3], v[32:33]
	v_add_f64 v[40:41], v[26:27], v[20:21]
	v_fma_f64 v[26:27], v[34:35], s[0:1], v[32:33]
	v_fma_f64 v[30:31], v[36:37], s[0:1], v[30:31]
	v_add_f64 v[8:9], v[8:9], -v[20:21]
	v_add_f64 v[10:11], v[10:11], v[22:23]
	v_add_f64 v[0:1], v[0:1], v[12:13]
	v_mul_f64 v[12:13], v[24:25], s[0:1]
	v_mul_f64 v[20:21], v[28:29], -0.5
	v_add_f64 v[2:3], v[2:3], v[14:15]
	v_mul_f64 v[14:15], v[26:27], s[2:3]
	v_mul_f64 v[22:23], v[30:31], -0.5
	v_fma_f64 v[42:43], v[8:9], s[2:3], v[6:7]
	v_fma_f64 v[6:7], v[8:9], s[0:1], v[6:7]
	v_add_f64 v[0:1], v[0:1], v[16:17]
	v_fma_f64 v[8:9], v[26:27], 0.5, v[12:13]
	v_fma_f64 v[12:13], v[30:31], s[0:1], v[20:21]
	v_add_f64 v[2:3], v[2:3], v[18:19]
	v_fma_f64 v[14:15], v[24:25], 0.5, v[14:15]
	v_fma_f64 v[30:31], v[28:29], s[2:3], v[22:23]
	s_load_dwordx2 s[2:3], s[4:5], 0x8
	v_mul_lo_u16_e32 v67, 6, v61
	v_add_f64 v[24:25], v[40:41], v[0:1]
	v_add_f64 v[16:17], v[38:39], v[8:9]
	;; [unrolled: 1-line block ×6, first 2 shown]
	v_add_f64 v[32:33], v[40:41], -v[0:1]
	v_add_f64 v[36:37], v[38:39], -v[8:9]
	;; [unrolled: 1-line block ×6, first 2 shown]
	s_waitcnt lgkmcnt(0)
	s_barrier
	s_and_saveexec_b64 s[0:1], vcc
	s_cbranch_execz .LBB0_7
; %bb.6:
	v_add_lshl_u32 v0, v62, v67, 4
	ds_write_b128 v0, v[24:27]
	ds_write_b128 v0, v[16:19] offset:16
	ds_write_b128 v0, v[20:23] offset:32
	;; [unrolled: 1-line block ×5, first 2 shown]
.LBB0_7:
	s_or_b64 exec, exec, s[0:1]
	s_load_dwordx2 s[4:5], s[4:5], 0x20
	v_cmp_gt_u16_e64 s[0:1], 18, v61
	v_add_lshl_u32 v65, v62, v61, 4
	s_waitcnt lgkmcnt(0)
	s_barrier
	s_waitcnt lgkmcnt(0)
                                        ; implicit-def: $vgpr40_vgpr41
	s_and_saveexec_b64 s[6:7], s[0:1]
	s_cbranch_execz .LBB0_9
; %bb.8:
	ds_read_b128 v[24:27], v65
	ds_read_b128 v[16:19], v65 offset:288
	ds_read_b128 v[20:23], v65 offset:576
	;; [unrolled: 1-line block ×6, first 2 shown]
.LBB0_9:
	s_or_b64 exec, exec, s[6:7]
	s_movk_i32 s6, 0xab
	v_mul_lo_u16_sdwa v0, v61, s6 dst_sel:DWORD dst_unused:UNUSED_PAD src0_sel:BYTE_0 src1_sel:DWORD
	v_lshrrev_b16_e32 v68, 10, v0
	v_mul_lo_u16_e32 v0, 6, v68
	v_sub_u16_e32 v66, v61, v0
	v_mov_b32_e32 v0, 6
	v_mul_u32_u24_sdwa v0, v66, v0 dst_sel:DWORD dst_unused:UNUSED_PAD src0_sel:BYTE_0 src1_sel:DWORD
	v_lshlrev_b32_e32 v54, 4, v0
	global_load_dwordx4 v[0:3], v54, s[2:3] offset:48
	global_load_dwordx4 v[4:7], v54, s[2:3] offset:32
	;; [unrolled: 1-line block ×3, first 2 shown]
	global_load_dwordx4 v[12:15], v54, s[2:3]
	s_mov_b32 s6, 0x37e14327
	s_mov_b32 s7, 0x3fe948f6
	;; [unrolled: 1-line block ×6, first 2 shown]
	s_waitcnt vmcnt(0) lgkmcnt(5)
	v_mul_f64 v[44:45], v[18:19], v[14:15]
	v_fma_f64 v[44:45], v[16:17], v[12:13], -v[44:45]
	v_mul_f64 v[16:17], v[16:17], v[14:15]
	v_fma_f64 v[46:47], v[18:19], v[12:13], v[16:17]
	s_waitcnt lgkmcnt(4)
	v_mul_f64 v[16:17], v[22:23], v[10:11]
	v_fma_f64 v[48:49], v[20:21], v[8:9], -v[16:17]
	v_mul_f64 v[16:17], v[20:21], v[10:11]
	v_fma_f64 v[50:51], v[22:23], v[8:9], v[16:17]
	s_waitcnt lgkmcnt(3)
	;; [unrolled: 5-line block ×3, first 2 shown]
	v_mul_f64 v[16:17], v[38:39], v[2:3]
	v_fma_f64 v[34:35], v[36:37], v[0:1], -v[16:17]
	v_mul_f64 v[16:17], v[36:37], v[2:3]
	v_fma_f64 v[36:37], v[38:39], v[0:1], v[16:17]
	global_load_dwordx4 v[16:19], v54, s[2:3] offset:80
	global_load_dwordx4 v[20:23], v54, s[2:3] offset:64
	s_waitcnt vmcnt(0) lgkmcnt(0)
	s_barrier
	v_mul_f64 v[38:39], v[30:31], v[22:23]
	v_fma_f64 v[38:39], v[28:29], v[20:21], -v[38:39]
	v_mul_f64 v[28:29], v[28:29], v[22:23]
	v_fma_f64 v[28:29], v[30:31], v[20:21], v[28:29]
	v_mul_f64 v[30:31], v[42:43], v[18:19]
	v_fma_f64 v[30:31], v[40:41], v[16:17], -v[30:31]
	v_mul_f64 v[40:41], v[40:41], v[18:19]
	v_fma_f64 v[40:41], v[42:43], v[16:17], v[40:41]
	v_add_f64 v[42:43], v[44:45], v[30:31]
	v_add_f64 v[30:31], v[44:45], -v[30:31]
	v_add_f64 v[44:45], v[48:49], v[38:39]
	v_add_f64 v[38:39], v[48:49], -v[38:39]
	v_add_f64 v[48:49], v[52:53], v[34:35]
	v_add_f64 v[34:35], v[34:35], -v[52:53]
	v_add_f64 v[54:55], v[46:47], v[40:41]
	v_add_f64 v[40:41], v[46:47], -v[40:41]
	v_add_f64 v[46:47], v[50:51], v[28:29]
	v_add_f64 v[28:29], v[50:51], -v[28:29]
	v_add_f64 v[50:51], v[32:33], v[36:37]
	v_add_f64 v[32:33], v[36:37], -v[32:33]
	v_add_f64 v[36:37], v[44:45], v[42:43]
	v_add_f64 v[56:57], v[44:45], -v[42:43]
	v_add_f64 v[42:43], v[42:43], -v[48:49]
	v_add_f64 v[69:70], v[34:35], v[38:39]
	v_add_f64 v[52:53], v[46:47], v[54:55]
	v_add_f64 v[58:59], v[46:47], -v[54:55]
	v_add_f64 v[54:55], v[54:55], -v[50:51]
	;; [unrolled: 1-line block ×4, first 2 shown]
	v_add_f64 v[71:72], v[32:33], v[28:29]
	v_add_f64 v[73:74], v[34:35], -v[38:39]
	v_add_f64 v[75:76], v[32:33], -v[28:29]
	;; [unrolled: 1-line block ×4, first 2 shown]
	v_add_f64 v[36:37], v[48:49], v[36:37]
	v_add_f64 v[48:49], v[50:51], v[52:53]
	v_add_f64 v[34:35], v[30:31], -v[34:35]
	v_add_f64 v[69:70], v[69:70], v[30:31]
	v_mul_f64 v[30:31], v[42:43], s[6:7]
	v_mul_f64 v[42:43], v[54:55], s[6:7]
	s_mov_b32 s6, 0x36b3c0b5
	s_mov_b32 s7, 0x3fac98ee
	v_mul_f64 v[50:51], v[44:45], s[6:7]
	v_mul_f64 v[52:53], v[46:47], s[6:7]
	v_add_f64 v[32:33], v[40:41], -v[32:33]
	v_add_f64 v[40:41], v[71:72], v[40:41]
	v_mul_f64 v[54:55], v[73:74], s[8:9]
	v_mul_f64 v[71:72], v[75:76], s[8:9]
	s_mov_b32 s8, 0x429ad128
	s_mov_b32 s9, 0x3febfeb5
	v_add_f64 v[24:25], v[24:25], v[36:37]
	v_add_f64 v[26:27], v[26:27], v[48:49]
	v_mul_f64 v[73:74], v[38:39], s[8:9]
	v_mul_f64 v[75:76], v[28:29], s[8:9]
	v_fma_f64 v[44:45], v[44:45], s[6:7], v[30:31]
	v_fma_f64 v[46:47], v[46:47], s[6:7], v[42:43]
	s_mov_b32 s7, 0x3fe77f67
	s_mov_b32 s6, 0x5476071b
	v_fma_f64 v[50:51], v[56:57], s[6:7], -v[50:51]
	v_fma_f64 v[52:53], v[58:59], s[6:7], -v[52:53]
	s_mov_b32 s7, 0xbfe77f67
	v_fma_f64 v[30:31], v[56:57], s[6:7], -v[30:31]
	v_fma_f64 v[42:43], v[58:59], s[6:7], -v[42:43]
	s_mov_b32 s7, 0x3fd5d0dc
	s_mov_b32 s6, 0xb247c609
	v_fma_f64 v[56:57], v[34:35], s[6:7], v[54:55]
	v_fma_f64 v[58:59], v[32:33], s[6:7], v[71:72]
	s_mov_b32 s7, 0xbfd5d0dc
	v_fma_f64 v[36:37], v[36:37], s[10:11], v[24:25]
	v_fma_f64 v[77:78], v[48:49], s[10:11], v[26:27]
	v_fma_f64 v[38:39], v[38:39], s[8:9], -v[54:55]
	v_fma_f64 v[71:72], v[28:29], s[8:9], -v[71:72]
	;; [unrolled: 1-line block ×4, first 2 shown]
	s_mov_b32 s6, 0x37c3f68c
	s_mov_b32 s7, 0x3fdc38aa
	v_add_f64 v[28:29], v[44:45], v[36:37]
	v_add_f64 v[48:49], v[46:47], v[77:78]
	;; [unrolled: 1-line block ×6, first 2 shown]
	v_fma_f64 v[54:55], v[69:70], s[6:7], v[56:57]
	v_fma_f64 v[52:53], v[40:41], s[6:7], v[58:59]
	;; [unrolled: 1-line block ×6, first 2 shown]
	v_mul_u32_u24_e32 v69, 42, v68
	v_add_f64 v[34:35], v[54:55], v[48:49]
	v_add_f64 v[32:33], v[28:29], -v[52:53]
	v_add_f64 v[38:39], v[42:43], v[46:47]
	v_add_f64 v[36:37], v[44:45], -v[71:72]
	;; [unrolled: 2-line block ×3, first 2 shown]
	v_add_f64 v[44:45], v[30:31], -v[56:57]
	v_add_f64 v[46:47], v[58:59], v[50:51]
	s_and_saveexec_b64 s[6:7], s[0:1]
	s_cbranch_execz .LBB0_11
; %bb.10:
	v_add_f64 v[54:55], v[48:49], -v[54:55]
	v_add_f64 v[52:53], v[52:53], v[28:29]
	v_add_f64 v[50:51], v[50:51], -v[58:59]
	v_add_f64 v[48:49], v[56:57], v[30:31]
	v_add_u32_sdwa v28, v69, v66 dst_sel:DWORD dst_unused:UNUSED_PAD src0_sel:DWORD src1_sel:BYTE_0
	v_add_lshl_u32 v28, v62, v28, 4
	ds_write_b128 v28, v[24:27]
	ds_write_b128 v28, v[52:55] offset:96
	ds_write_b128 v28, v[48:51] offset:192
	;; [unrolled: 1-line block ×6, first 2 shown]
.LBB0_11:
	s_or_b64 exec, exec, s[6:7]
	v_lshlrev_b32_e32 v48, 5, v61
	s_load_dwordx4 s[4:7], s[4:5], 0x0
	s_waitcnt lgkmcnt(0)
	s_barrier
	global_load_dwordx4 v[28:31], v48, s[2:3] offset:576
	global_load_dwordx4 v[24:27], v48, s[2:3] offset:592
	ds_read_b128 v[48:51], v65 offset:672
	ds_read_b128 v[52:55], v65 offset:1344
	s_mov_b32 s2, 0xe8584caa
	s_mov_b32 s3, 0x3febb67a
	;; [unrolled: 1-line block ×4, first 2 shown]
	v_lshl_add_u32 v68, v61, 4, v64
	s_waitcnt vmcnt(1) lgkmcnt(1)
	v_mul_f64 v[56:57], v[50:51], v[30:31]
	v_mul_f64 v[58:59], v[48:49], v[30:31]
	s_waitcnt vmcnt(0) lgkmcnt(0)
	v_mul_f64 v[70:71], v[54:55], v[26:27]
	v_mul_f64 v[72:73], v[52:53], v[26:27]
	v_fma_f64 v[56:57], v[48:49], v[28:29], -v[56:57]
	v_fma_f64 v[58:59], v[50:51], v[28:29], v[58:59]
	v_fma_f64 v[52:53], v[52:53], v[24:25], -v[70:71]
	v_fma_f64 v[54:55], v[54:55], v[24:25], v[72:73]
	ds_read_b128 v[48:51], v65
	s_waitcnt lgkmcnt(0)
	v_add_f64 v[74:75], v[48:49], v[56:57]
	v_add_f64 v[70:71], v[56:57], v[52:53]
	;; [unrolled: 1-line block ×3, first 2 shown]
	v_add_f64 v[76:77], v[58:59], -v[54:55]
	v_add_f64 v[58:59], v[50:51], v[58:59]
	v_add_f64 v[78:79], v[56:57], -v[52:53]
	v_add_f64 v[52:53], v[74:75], v[52:53]
	v_fma_f64 v[56:57], v[70:71], -0.5, v[48:49]
	v_fma_f64 v[70:71], v[72:73], -0.5, v[50:51]
	v_add_f64 v[54:55], v[58:59], v[54:55]
	v_fma_f64 v[48:49], v[76:77], s[2:3], v[56:57]
	v_fma_f64 v[56:57], v[76:77], s[8:9], v[56:57]
	;; [unrolled: 1-line block ×4, first 2 shown]
	ds_write_b128 v68, v[52:55]
	ds_write_b128 v68, v[48:51] offset:672
	ds_write_b128 v68, v[56:59] offset:1344
	s_waitcnt lgkmcnt(0)
	s_barrier
	s_and_saveexec_b64 s[2:3], vcc
	s_cbranch_execz .LBB0_13
; %bb.12:
	global_load_dwordx4 v[74:77], v63, s[14:15] offset:2016
	ds_read_b128 v[70:73], v68
	s_add_u32 s8, s14, 0x7e0
	s_addc_u32 s9, s15, 0
	s_waitcnt vmcnt(0) lgkmcnt(0)
	v_mul_f64 v[78:79], v[72:73], v[76:77]
	v_fma_f64 v[78:79], v[70:71], v[74:75], -v[78:79]
	v_mul_f64 v[70:71], v[70:71], v[76:77]
	v_fma_f64 v[80:81], v[72:73], v[74:75], v[70:71]
	global_load_dwordx4 v[74:77], v63, s[8:9] offset:336
	ds_read_b128 v[70:73], v68 offset:336
	ds_write_b128 v68, v[78:81]
	s_waitcnt vmcnt(0) lgkmcnt(1)
	v_mul_f64 v[78:79], v[72:73], v[76:77]
	v_fma_f64 v[78:79], v[70:71], v[74:75], -v[78:79]
	v_mul_f64 v[70:71], v[70:71], v[76:77]
	v_fma_f64 v[80:81], v[72:73], v[74:75], v[70:71]
	global_load_dwordx4 v[74:77], v63, s[8:9] offset:672
	ds_read_b128 v[70:73], v68 offset:672
	ds_write_b128 v68, v[78:81] offset:336
	s_waitcnt vmcnt(0) lgkmcnt(1)
	v_mul_f64 v[78:79], v[72:73], v[76:77]
	v_fma_f64 v[78:79], v[70:71], v[74:75], -v[78:79]
	v_mul_f64 v[70:71], v[70:71], v[76:77]
	v_fma_f64 v[80:81], v[72:73], v[74:75], v[70:71]
	global_load_dwordx4 v[74:77], v63, s[8:9] offset:1008
	ds_read_b128 v[70:73], v68 offset:1008
	ds_write_b128 v68, v[78:81] offset:672
	;; [unrolled: 8-line block ×4, first 2 shown]
	s_waitcnt vmcnt(0) lgkmcnt(1)
	v_mul_f64 v[78:79], v[72:73], v[76:77]
	v_fma_f64 v[78:79], v[70:71], v[74:75], -v[78:79]
	v_mul_f64 v[70:71], v[70:71], v[76:77]
	v_fma_f64 v[80:81], v[72:73], v[74:75], v[70:71]
	ds_write_b128 v68, v[78:81] offset:1680
.LBB0_13:
	s_or_b64 exec, exec, s[2:3]
	s_waitcnt lgkmcnt(0)
	s_barrier
	s_and_saveexec_b64 s[2:3], vcc
	s_cbranch_execz .LBB0_15
; %bb.14:
	ds_read_b128 v[52:55], v68
	ds_read_b128 v[48:51], v68 offset:336
	ds_read_b128 v[56:59], v68 offset:672
	;; [unrolled: 1-line block ×5, first 2 shown]
.LBB0_15:
	s_or_b64 exec, exec, s[2:3]
	s_waitcnt lgkmcnt(1)
	v_add_f64 v[72:73], v[56:57], v[40:41]
	v_add_f64 v[70:71], v[52:53], v[56:57]
	s_mov_b32 s8, 0xe8584caa
	s_mov_b32 s9, 0xbfebb67a
	;; [unrolled: 1-line block ×4, first 2 shown]
	s_waitcnt lgkmcnt(0)
	s_barrier
	v_fma_f64 v[52:53], v[72:73], -0.5, v[52:53]
	v_add_f64 v[72:73], v[58:59], -v[42:43]
	v_add_f64 v[70:71], v[70:71], v[40:41]
	v_add_f64 v[40:41], v[56:57], -v[40:41]
	v_fma_f64 v[74:75], v[72:73], s[8:9], v[52:53]
	v_fma_f64 v[72:73], v[72:73], s[2:3], v[52:53]
	v_add_f64 v[52:53], v[54:55], v[58:59]
	v_add_f64 v[76:77], v[52:53], v[42:43]
	;; [unrolled: 1-line block ×3, first 2 shown]
	v_fma_f64 v[42:43], v[42:43], -0.5, v[54:55]
	v_fma_f64 v[54:55], v[40:41], s[2:3], v[42:43]
	v_fma_f64 v[58:59], v[40:41], s[8:9], v[42:43]
	v_add_f64 v[40:41], v[48:49], v[36:37]
	v_add_f64 v[42:43], v[38:39], -v[46:47]
	v_add_f64 v[52:53], v[40:41], v[44:45]
	v_add_f64 v[40:41], v[36:37], v[44:45]
	v_add_f64 v[36:37], v[36:37], -v[44:45]
	v_fma_f64 v[40:41], v[40:41], -0.5, v[48:49]
	v_fma_f64 v[48:49], v[42:43], s[8:9], v[40:41]
	v_fma_f64 v[56:57], v[42:43], s[2:3], v[40:41]
	v_add_f64 v[40:41], v[50:51], v[38:39]
	v_add_f64 v[38:39], v[38:39], v[46:47]
	;; [unrolled: 1-line block ×3, first 2 shown]
	v_fma_f64 v[38:39], v[38:39], -0.5, v[50:51]
	v_fma_f64 v[42:43], v[36:37], s[2:3], v[38:39]
	v_fma_f64 v[46:47], v[36:37], s[8:9], v[38:39]
	v_add_f64 v[36:37], v[70:71], v[52:53]
	v_mul_f64 v[38:39], v[42:43], s[8:9]
	v_mul_f64 v[42:43], v[42:43], 0.5
	v_fma_f64 v[50:51], v[48:49], 0.5, v[38:39]
	v_mul_f64 v[38:39], v[46:47], s[8:9]
	v_mul_f64 v[46:47], v[46:47], -0.5
	v_fma_f64 v[82:83], v[48:49], s[2:3], v[42:43]
	v_add_f64 v[48:49], v[70:71], -v[52:53]
	v_add_f64 v[40:41], v[74:75], v[50:51]
	v_fma_f64 v[80:81], v[56:57], -0.5, v[38:39]
	v_fma_f64 v[84:85], v[56:57], s[2:3], v[46:47]
	v_add_f64 v[38:39], v[76:77], v[78:79]
	v_add_f64 v[42:43], v[54:55], v[82:83]
	v_add_f64 v[52:53], v[74:75], -v[50:51]
	v_add_f64 v[50:51], v[76:77], -v[78:79]
	;; [unrolled: 1-line block ×3, first 2 shown]
	v_add_f64 v[44:45], v[72:73], v[80:81]
	v_add_f64 v[46:47], v[58:59], v[84:85]
	v_add_f64 v[56:57], v[72:73], -v[80:81]
	v_add_f64 v[58:59], v[58:59], -v[84:85]
	s_and_saveexec_b64 s[2:3], vcc
	s_cbranch_execz .LBB0_17
; %bb.16:
	v_lshl_add_u32 v67, v67, 4, v64
	ds_write_b128 v67, v[36:39]
	ds_write_b128 v67, v[40:43] offset:16
	ds_write_b128 v67, v[44:47] offset:32
	;; [unrolled: 1-line block ×5, first 2 shown]
.LBB0_17:
	s_or_b64 exec, exec, s[2:3]
	s_waitcnt lgkmcnt(0)
	s_barrier
	s_and_saveexec_b64 s[2:3], s[0:1]
	s_cbranch_execz .LBB0_19
; %bb.18:
	ds_read_b128 v[36:39], v65
	ds_read_b128 v[40:43], v65 offset:288
	ds_read_b128 v[44:47], v65 offset:576
	;; [unrolled: 1-line block ×6, first 2 shown]
.LBB0_19:
	s_or_b64 exec, exec, s[2:3]
	s_waitcnt lgkmcnt(0)
	s_barrier
	s_and_saveexec_b64 s[2:3], s[0:1]
	s_cbranch_execz .LBB0_21
; %bb.20:
	v_mul_f64 v[70:71], v[14:15], v[42:43]
	v_mul_f64 v[72:73], v[18:19], v[34:35]
	;; [unrolled: 1-line block ×10, first 2 shown]
	v_fma_f64 v[44:45], v[8:9], v[44:45], v[78:79]
	v_fma_f64 v[56:57], v[20:21], v[56:57], v[80:81]
	v_fma_f64 v[18:19], v[16:17], v[34:35], -v[18:19]
	v_fma_f64 v[14:15], v[12:13], v[42:43], -v[14:15]
	;; [unrolled: 1-line block ×4, first 2 shown]
	v_mul_f64 v[6:7], v[6:7], v[48:49]
	v_mul_f64 v[2:3], v[2:3], v[52:53]
	v_fma_f64 v[74:75], v[0:1], v[52:53], v[74:75]
	v_fma_f64 v[76:77], v[4:5], v[48:49], v[76:77]
	;; [unrolled: 1-line block ×4, first 2 shown]
	v_add_f64 v[32:33], v[14:15], v[18:19]
	v_add_f64 v[34:35], v[8:9], v[20:21]
	v_fma_f64 v[4:5], v[4:5], v[50:51], -v[6:7]
	v_fma_f64 v[0:1], v[0:1], v[54:55], -v[2:3]
	v_add_f64 v[22:23], v[44:45], -v[56:57]
	v_add_f64 v[16:17], v[74:75], -v[76:77]
	s_mov_b32 s10, 0xe976ee23
	v_add_f64 v[6:7], v[10:11], -v[12:13]
	v_add_f64 v[10:11], v[10:11], v[12:13]
	v_add_f64 v[40:41], v[34:35], v[32:33]
	;; [unrolled: 1-line block ×4, first 2 shown]
	s_mov_b32 s11, 0x3fe11646
	v_add_f64 v[2:3], v[16:17], -v[22:23]
	v_add_f64 v[50:51], v[76:77], v[74:75]
	v_add_f64 v[4:5], v[0:1], -v[4:5]
	v_add_f64 v[8:9], v[8:9], -v[20:21]
	;; [unrolled: 1-line block ×3, first 2 shown]
	v_add_f64 v[16:17], v[16:17], v[22:23]
	v_add_f64 v[40:41], v[42:43], v[40:41]
	v_add_f64 v[52:53], v[32:33], -v[42:43]
	v_mul_f64 v[48:49], v[2:3], s[10:11]
	v_add_f64 v[14:15], v[14:15], -v[18:19]
	v_add_f64 v[54:55], v[10:11], -v[50:51]
	s_mov_b32 s18, 0x37e14327
	v_add_f64 v[18:19], v[4:5], -v[8:9]
	s_mov_b32 s19, 0x3fe948f6
	v_add_f64 v[2:3], v[38:39], v[40:41]
	v_add_f64 v[38:39], v[12:13], v[10:11]
	v_add_f64 v[16:17], v[16:17], v[6:7]
	v_mul_f64 v[52:53], v[52:53], s[18:19]
	v_add_f64 v[20:21], v[42:43], -v[34:35]
	v_add_f64 v[6:7], v[22:23], -v[6:7]
	;; [unrolled: 1-line block ×3, first 2 shown]
	v_add_f64 v[4:5], v[4:5], v[8:9]
	v_add_f64 v[32:33], v[34:35], -v[32:33]
	v_add_f64 v[38:39], v[50:51], v[38:39]
	v_add_f64 v[8:9], v[8:9], -v[14:15]
	v_add_f64 v[42:43], v[50:51], -v[12:13]
	s_mov_b32 s16, 0xaaaaaaaa
	s_mov_b32 s17, 0xbff2aaaa
	v_mul_f64 v[18:19], v[18:19], s[10:11]
	s_mov_b32 s10, 0x429ad128
	v_fma_f64 v[40:41], v[40:41], s[16:17], v[2:3]
	v_add_f64 v[0:1], v[36:37], v[38:39]
	v_mul_f64 v[36:37], v[54:55], s[18:19]
	s_mov_b32 s18, 0x36b3c0b5
	s_mov_b32 s19, 0x3fac98ee
	;; [unrolled: 1-line block ×3, first 2 shown]
	v_add_f64 v[10:11], v[12:13], -v[10:11]
	v_fma_f64 v[50:51], v[20:21], s[18:19], v[52:53]
	v_mul_f64 v[20:21], v[20:21], s[18:19]
	v_fma_f64 v[38:39], v[38:39], s[16:17], v[0:1]
	s_mov_b32 s17, 0xbfe77f67
	s_mov_b32 s16, 0x5476071b
	v_mul_f64 v[56:57], v[6:7], s[10:11]
	v_add_f64 v[12:13], v[4:5], v[14:15]
	v_fma_f64 v[14:15], v[32:33], s[16:17], -v[52:53]
	v_mul_f64 v[34:35], v[8:9], s[10:11]
	v_fma_f64 v[54:55], v[42:43], s[18:19], v[36:37]
	v_mul_f64 v[42:43], v[42:43], s[18:19]
	s_mov_b32 s9, 0xbfd5d0dc
	s_mov_b32 s8, 0xb247c609
	v_fma_f64 v[44:45], v[46:47], s[8:9], v[48:49]
	v_fma_f64 v[58:59], v[22:23], s[8:9], v[18:19]
	s_mov_b32 s9, 0x3fd5d0dc
	v_fma_f64 v[36:37], v[10:11], s[16:17], -v[36:37]
	s_mov_b32 s17, 0x3fe77f67
	v_fma_f64 v[4:5], v[46:47], s[8:9], -v[56:57]
	v_fma_f64 v[20:21], v[32:33], s[16:17], -v[20:21]
	;; [unrolled: 1-line block ×3, first 2 shown]
	v_add_f64 v[48:49], v[14:15], v[40:41]
	v_fma_f64 v[14:15], v[22:23], s[8:9], -v[34:35]
	v_fma_f64 v[10:11], v[10:11], s[16:17], -v[42:43]
	;; [unrolled: 1-line block ×3, first 2 shown]
	s_mov_b32 s0, 0x37c3f68c
	s_mov_b32 s1, 0xbfdc38aa
	v_fma_f64 v[44:45], v[16:17], s[0:1], v[44:45]
	v_add_f64 v[50:51], v[50:51], v[40:41]
	v_add_f64 v[54:55], v[54:55], v[38:39]
	v_fma_f64 v[32:33], v[12:13], s[0:1], v[58:59]
	v_fma_f64 v[46:47], v[16:17], s[0:1], v[4:5]
	v_add_f64 v[18:19], v[20:21], v[40:41]
	v_add_f64 v[36:37], v[36:37], v[38:39]
	v_fma_f64 v[40:41], v[12:13], s[0:1], v[14:15]
	v_fma_f64 v[16:17], v[16:17], s[0:1], v[6:7]
	v_add_f64 v[38:39], v[10:11], v[38:39]
	v_fma_f64 v[8:9], v[12:13], s[0:1], v[8:9]
	v_add_f64 v[4:5], v[54:55], -v[32:33]
	v_add_f64 v[34:35], v[50:51], -v[44:45]
	v_add_f64 v[32:33], v[32:33], v[54:55]
	v_add_f64 v[22:23], v[48:49], -v[46:47]
	v_add_f64 v[20:21], v[40:41], v[36:37]
	;; [unrolled: 2-line block ×4, first 2 shown]
	v_add_f64 v[10:11], v[46:47], v[48:49]
	v_add_f64 v[8:9], v[36:37], -v[40:41]
	v_add_f64 v[6:7], v[44:45], v[50:51]
	v_add_u32_sdwa v36, v69, v66 dst_sel:DWORD dst_unused:UNUSED_PAD src0_sel:DWORD src1_sel:BYTE_0
	v_lshl_add_u32 v36, v36, 4, v64
	ds_write_b128 v36, v[0:3]
	ds_write_b128 v36, v[32:35] offset:96
	ds_write_b128 v36, v[20:23] offset:192
	;; [unrolled: 1-line block ×6, first 2 shown]
.LBB0_21:
	s_or_b64 exec, exec, s[2:3]
	s_waitcnt lgkmcnt(0)
	s_barrier
	ds_read_b128 v[0:3], v65 offset:672
	ds_read_b128 v[4:7], v65 offset:1344
	s_mov_b32 s0, 0xe8584caa
	s_mov_b32 s1, 0xbfebb67a
	;; [unrolled: 1-line block ×3, first 2 shown]
	s_waitcnt lgkmcnt(1)
	v_mul_f64 v[8:9], v[30:31], v[2:3]
	v_mul_f64 v[10:11], v[30:31], v[0:1]
	s_waitcnt lgkmcnt(0)
	v_mul_f64 v[12:13], v[26:27], v[6:7]
	v_mul_f64 v[14:15], v[26:27], v[4:5]
	s_mov_b32 s2, s0
	v_fma_f64 v[8:9], v[28:29], v[0:1], v[8:9]
	v_fma_f64 v[10:11], v[28:29], v[2:3], -v[10:11]
	v_fma_f64 v[4:5], v[24:25], v[4:5], v[12:13]
	v_fma_f64 v[6:7], v[24:25], v[6:7], -v[14:15]
	ds_read_b128 v[0:3], v65
	s_waitcnt lgkmcnt(0)
	v_add_f64 v[16:17], v[0:1], v[8:9]
	v_add_f64 v[12:13], v[8:9], v[4:5]
	;; [unrolled: 1-line block ×3, first 2 shown]
	v_add_f64 v[18:19], v[10:11], -v[6:7]
	v_add_f64 v[10:11], v[2:3], v[10:11]
	v_add_f64 v[20:21], v[8:9], -v[4:5]
	v_fma_f64 v[8:9], v[12:13], -0.5, v[0:1]
	v_fma_f64 v[12:13], v[14:15], -0.5, v[2:3]
	v_add_f64 v[0:1], v[16:17], v[4:5]
	v_add_f64 v[2:3], v[10:11], v[6:7]
	v_fma_f64 v[4:5], v[18:19], s[0:1], v[8:9]
	v_fma_f64 v[6:7], v[20:21], s[2:3], v[12:13]
	;; [unrolled: 1-line block ×4, first 2 shown]
	ds_write_b128 v68, v[0:3]
	ds_write_b128 v68, v[4:7] offset:672
	ds_write_b128 v68, v[8:11] offset:1344
	s_waitcnt lgkmcnt(0)
	s_barrier
	s_and_b64 exec, exec, vcc
	s_cbranch_execz .LBB0_23
; %bb.22:
	global_load_dwordx4 v[0:3], v63, s[14:15]
	global_load_dwordx4 v[4:7], v63, s[14:15] offset:336
	global_load_dwordx4 v[8:11], v63, s[14:15] offset:672
	global_load_dwordx4 v[12:15], v63, s[14:15] offset:1008
	global_load_dwordx4 v[16:19], v63, s[14:15] offset:1344
	global_load_dwordx4 v[20:23], v63, s[14:15] offset:1680
	v_mad_u64_u32 v[48:49], s[0:1], s6, v60, 0
	v_mad_u64_u32 v[50:51], s[2:3], s4, v61, 0
	s_mul_i32 s2, s5, 0x150
	s_mul_hi_u32 s3, s4, 0x150
	s_add_i32 s6, s3, s2
	v_mad_u64_u32 v[52:53], s[2:3], s7, v60, v[49:50]
	v_mov_b32_e32 v55, s13
	v_lshl_add_u32 v44, v62, 4, v63
	v_mad_u64_u32 v[53:54], s[2:3], s5, v61, v[51:52]
	v_mov_b32_e32 v49, v52
	v_lshlrev_b64 v[48:49], 4, v[48:49]
	v_mov_b32_e32 v51, v53
	v_lshlrev_b64 v[50:51], 4, v[50:51]
	v_add_co_u32_e32 v48, vcc, s12, v48
	v_addc_co_u32_e32 v49, vcc, v55, v49, vcc
	v_add_co_u32_e32 v48, vcc, v48, v50
	s_mulk_i32 s4, 0x150
	ds_read_b128 v[24:27], v68
	ds_read_b128 v[28:31], v44 offset:336
	v_addc_co_u32_e32 v49, vcc, v49, v51, vcc
	v_mov_b32_e32 v56, s6
	v_add_co_u32_e32 v50, vcc, s4, v48
	v_addc_co_u32_e32 v51, vcc, v49, v56, vcc
	v_mov_b32_e32 v57, s6
	v_add_co_u32_e32 v52, vcc, s4, v50
	v_addc_co_u32_e32 v53, vcc, v51, v57, vcc
	ds_read_b128 v[32:35], v44 offset:672
	ds_read_b128 v[36:39], v44 offset:1008
	;; [unrolled: 1-line block ×4, first 2 shown]
	v_mov_b32_e32 v58, s6
	v_add_co_u32_e32 v54, vcc, s4, v52
	v_addc_co_u32_e32 v55, vcc, v53, v58, vcc
	s_mov_b32 s0, 0x10410410
	s_mov_b32 s1, 0x3f804104
	v_mov_b32_e32 v68, s6
	v_mov_b32_e32 v69, s6
	s_waitcnt vmcnt(5) lgkmcnt(5)
	v_mul_f64 v[56:57], v[26:27], v[2:3]
	v_mul_f64 v[2:3], v[24:25], v[2:3]
	s_waitcnt vmcnt(4) lgkmcnt(4)
	v_mul_f64 v[58:59], v[30:31], v[6:7]
	v_mul_f64 v[6:7], v[28:29], v[6:7]
	;; [unrolled: 3-line block ×4, first 2 shown]
	v_fma_f64 v[24:25], v[24:25], v[0:1], v[56:57]
	v_fma_f64 v[2:3], v[0:1], v[26:27], -v[2:3]
	v_mul_f64 v[0:1], v[44:45], v[22:23]
	v_mul_f64 v[14:15], v[36:37], v[14:15]
	;; [unrolled: 1-line block ×4, first 2 shown]
	v_fma_f64 v[22:23], v[28:29], v[4:5], v[58:59]
	v_fma_f64 v[6:7], v[4:5], v[30:31], -v[6:7]
	v_fma_f64 v[26:27], v[32:33], v[8:9], v[60:61]
	v_fma_f64 v[10:11], v[8:9], v[34:35], -v[10:11]
	;; [unrolled: 2-line block ×5, first 2 shown]
	v_mul_f64 v[0:1], v[24:25], s[0:1]
	v_mul_f64 v[2:3], v[2:3], s[0:1]
	;; [unrolled: 1-line block ×12, first 2 shown]
	v_add_co_u32_e32 v24, vcc, s4, v54
	v_addc_co_u32_e32 v25, vcc, v55, v68, vcc
	global_store_dwordx4 v[48:49], v[0:3], off
	global_store_dwordx4 v[50:51], v[4:7], off
	;; [unrolled: 1-line block ×5, first 2 shown]
	v_add_co_u32_e32 v0, vcc, s4, v24
	v_addc_co_u32_e32 v1, vcc, v25, v69, vcc
	global_store_dwordx4 v[0:1], v[20:23], off
.LBB0_23:
	s_endpgm
	.section	.rodata,"a",@progbits
	.p2align	6, 0x0
	.amdhsa_kernel bluestein_single_fwd_len126_dim1_dp_op_CI_CI
		.amdhsa_group_segment_fixed_size 12096
		.amdhsa_private_segment_fixed_size 0
		.amdhsa_kernarg_size 104
		.amdhsa_user_sgpr_count 6
		.amdhsa_user_sgpr_private_segment_buffer 1
		.amdhsa_user_sgpr_dispatch_ptr 0
		.amdhsa_user_sgpr_queue_ptr 0
		.amdhsa_user_sgpr_kernarg_segment_ptr 1
		.amdhsa_user_sgpr_dispatch_id 0
		.amdhsa_user_sgpr_flat_scratch_init 0
		.amdhsa_user_sgpr_private_segment_size 0
		.amdhsa_uses_dynamic_stack 0
		.amdhsa_system_sgpr_private_segment_wavefront_offset 0
		.amdhsa_system_sgpr_workgroup_id_x 1
		.amdhsa_system_sgpr_workgroup_id_y 0
		.amdhsa_system_sgpr_workgroup_id_z 0
		.amdhsa_system_sgpr_workgroup_info 0
		.amdhsa_system_vgpr_workitem_id 0
		.amdhsa_next_free_vgpr 86
		.amdhsa_next_free_sgpr 20
		.amdhsa_reserve_vcc 1
		.amdhsa_reserve_flat_scratch 0
		.amdhsa_float_round_mode_32 0
		.amdhsa_float_round_mode_16_64 0
		.amdhsa_float_denorm_mode_32 3
		.amdhsa_float_denorm_mode_16_64 3
		.amdhsa_dx10_clamp 1
		.amdhsa_ieee_mode 1
		.amdhsa_fp16_overflow 0
		.amdhsa_exception_fp_ieee_invalid_op 0
		.amdhsa_exception_fp_denorm_src 0
		.amdhsa_exception_fp_ieee_div_zero 0
		.amdhsa_exception_fp_ieee_overflow 0
		.amdhsa_exception_fp_ieee_underflow 0
		.amdhsa_exception_fp_ieee_inexact 0
		.amdhsa_exception_int_div_zero 0
	.end_amdhsa_kernel
	.text
.Lfunc_end0:
	.size	bluestein_single_fwd_len126_dim1_dp_op_CI_CI, .Lfunc_end0-bluestein_single_fwd_len126_dim1_dp_op_CI_CI
                                        ; -- End function
	.section	.AMDGPU.csdata,"",@progbits
; Kernel info:
; codeLenInByte = 5952
; NumSgprs: 24
; NumVgprs: 86
; ScratchSize: 0
; MemoryBound: 0
; FloatMode: 240
; IeeeMode: 1
; LDSByteSize: 12096 bytes/workgroup (compile time only)
; SGPRBlocks: 2
; VGPRBlocks: 21
; NumSGPRsForWavesPerEU: 24
; NumVGPRsForWavesPerEU: 86
; Occupancy: 2
; WaveLimiterHint : 1
; COMPUTE_PGM_RSRC2:SCRATCH_EN: 0
; COMPUTE_PGM_RSRC2:USER_SGPR: 6
; COMPUTE_PGM_RSRC2:TRAP_HANDLER: 0
; COMPUTE_PGM_RSRC2:TGID_X_EN: 1
; COMPUTE_PGM_RSRC2:TGID_Y_EN: 0
; COMPUTE_PGM_RSRC2:TGID_Z_EN: 0
; COMPUTE_PGM_RSRC2:TIDIG_COMP_CNT: 0
	.type	__hip_cuid_5ca5e6262f4fbf15,@object ; @__hip_cuid_5ca5e6262f4fbf15
	.section	.bss,"aw",@nobits
	.globl	__hip_cuid_5ca5e6262f4fbf15
__hip_cuid_5ca5e6262f4fbf15:
	.byte	0                               ; 0x0
	.size	__hip_cuid_5ca5e6262f4fbf15, 1

	.ident	"AMD clang version 19.0.0git (https://github.com/RadeonOpenCompute/llvm-project roc-6.4.0 25133 c7fe45cf4b819c5991fe208aaa96edf142730f1d)"
	.section	".note.GNU-stack","",@progbits
	.addrsig
	.addrsig_sym __hip_cuid_5ca5e6262f4fbf15
	.amdgpu_metadata
---
amdhsa.kernels:
  - .args:
      - .actual_access:  read_only
        .address_space:  global
        .offset:         0
        .size:           8
        .value_kind:     global_buffer
      - .actual_access:  read_only
        .address_space:  global
        .offset:         8
        .size:           8
        .value_kind:     global_buffer
      - .actual_access:  read_only
        .address_space:  global
        .offset:         16
        .size:           8
        .value_kind:     global_buffer
      - .actual_access:  read_only
        .address_space:  global
        .offset:         24
        .size:           8
        .value_kind:     global_buffer
      - .actual_access:  read_only
        .address_space:  global
        .offset:         32
        .size:           8
        .value_kind:     global_buffer
      - .offset:         40
        .size:           8
        .value_kind:     by_value
      - .address_space:  global
        .offset:         48
        .size:           8
        .value_kind:     global_buffer
      - .address_space:  global
        .offset:         56
        .size:           8
        .value_kind:     global_buffer
      - .address_space:  global
        .offset:         64
        .size:           8
        .value_kind:     global_buffer
      - .address_space:  global
        .offset:         72
        .size:           8
        .value_kind:     global_buffer
      - .offset:         80
        .size:           4
        .value_kind:     by_value
      - .address_space:  global
        .offset:         88
        .size:           8
        .value_kind:     global_buffer
      - .address_space:  global
        .offset:         96
        .size:           8
        .value_kind:     global_buffer
    .group_segment_fixed_size: 12096
    .kernarg_segment_align: 8
    .kernarg_segment_size: 104
    .language:       OpenCL C
    .language_version:
      - 2
      - 0
    .max_flat_workgroup_size: 252
    .name:           bluestein_single_fwd_len126_dim1_dp_op_CI_CI
    .private_segment_fixed_size: 0
    .sgpr_count:     24
    .sgpr_spill_count: 0
    .symbol:         bluestein_single_fwd_len126_dim1_dp_op_CI_CI.kd
    .uniform_work_group_size: 1
    .uses_dynamic_stack: false
    .vgpr_count:     86
    .vgpr_spill_count: 0
    .wavefront_size: 64
amdhsa.target:   amdgcn-amd-amdhsa--gfx906
amdhsa.version:
  - 1
  - 2
...

	.end_amdgpu_metadata
